;; amdgpu-corpus repo=ROCm/rocFFT kind=compiled arch=gfx1201 opt=O3
	.text
	.amdgcn_target "amdgcn-amd-amdhsa--gfx1201"
	.amdhsa_code_object_version 6
	.protected	fft_rtc_fwd_len432_factors_3_16_3_3_wgs_54_tpt_27_halfLds_dp_ip_CI_unitstride_sbrr_dirReg ; -- Begin function fft_rtc_fwd_len432_factors_3_16_3_3_wgs_54_tpt_27_halfLds_dp_ip_CI_unitstride_sbrr_dirReg
	.globl	fft_rtc_fwd_len432_factors_3_16_3_3_wgs_54_tpt_27_halfLds_dp_ip_CI_unitstride_sbrr_dirReg
	.p2align	8
	.type	fft_rtc_fwd_len432_factors_3_16_3_3_wgs_54_tpt_27_halfLds_dp_ip_CI_unitstride_sbrr_dirReg,@function
fft_rtc_fwd_len432_factors_3_16_3_3_wgs_54_tpt_27_halfLds_dp_ip_CI_unitstride_sbrr_dirReg: ; @fft_rtc_fwd_len432_factors_3_16_3_3_wgs_54_tpt_27_halfLds_dp_ip_CI_unitstride_sbrr_dirReg
; %bb.0:
	s_clause 0x2
	s_load_b128 s[4:7], s[0:1], 0x0
	s_load_b64 s[8:9], s[0:1], 0x50
	s_load_b64 s[10:11], s[0:1], 0x18
	v_mul_u32_u24_e32 v1, 0x97c, v0
	v_mov_b32_e32 v3, 0
	s_delay_alu instid0(VALU_DEP_2) | instskip(SKIP_2) | instid1(VALU_DEP_4)
	v_lshrrev_b32_e32 v80, 16, v1
	v_mov_b32_e32 v1, 0
	v_mov_b32_e32 v2, 0
	;; [unrolled: 1-line block ×3, first 2 shown]
	s_delay_alu instid0(VALU_DEP_4) | instskip(SKIP_2) | instid1(VALU_DEP_1)
	v_lshl_add_u32 v5, ttmp9, 1, v80
	s_wait_kmcnt 0x0
	v_cmp_lt_u64_e64 s2, s[6:7], 2
	s_and_b32 vcc_lo, exec_lo, s2
	s_cbranch_vccnz .LBB0_8
; %bb.1:
	s_load_b64 s[2:3], s[0:1], 0x10
	v_mov_b32_e32 v1, 0
	v_mov_b32_e32 v2, 0
	s_add_nc_u64 s[12:13], s[10:11], 8
	s_mov_b64 s[14:15], 1
	s_wait_kmcnt 0x0
	s_add_nc_u64 s[16:17], s[2:3], 8
	s_mov_b32 s3, 0
.LBB0_2:                                ; =>This Inner Loop Header: Depth=1
	s_load_b64 s[18:19], s[16:17], 0x0
                                        ; implicit-def: $vgpr7_vgpr8
	s_mov_b32 s2, exec_lo
	s_wait_kmcnt 0x0
	v_or_b32_e32 v4, s19, v6
	s_delay_alu instid0(VALU_DEP_1)
	v_cmpx_ne_u64_e32 0, v[3:4]
	s_wait_alu 0xfffe
	s_xor_b32 s20, exec_lo, s2
	s_cbranch_execz .LBB0_4
; %bb.3:                                ;   in Loop: Header=BB0_2 Depth=1
	s_cvt_f32_u32 s2, s18
	s_cvt_f32_u32 s21, s19
	s_sub_nc_u64 s[24:25], 0, s[18:19]
	s_wait_alu 0xfffe
	s_delay_alu instid0(SALU_CYCLE_1) | instskip(SKIP_1) | instid1(SALU_CYCLE_2)
	s_fmamk_f32 s2, s21, 0x4f800000, s2
	s_wait_alu 0xfffe
	v_s_rcp_f32 s2, s2
	s_delay_alu instid0(TRANS32_DEP_1) | instskip(SKIP_1) | instid1(SALU_CYCLE_2)
	s_mul_f32 s2, s2, 0x5f7ffffc
	s_wait_alu 0xfffe
	s_mul_f32 s21, s2, 0x2f800000
	s_wait_alu 0xfffe
	s_delay_alu instid0(SALU_CYCLE_2) | instskip(SKIP_1) | instid1(SALU_CYCLE_2)
	s_trunc_f32 s21, s21
	s_wait_alu 0xfffe
	s_fmamk_f32 s2, s21, 0xcf800000, s2
	s_cvt_u32_f32 s23, s21
	s_wait_alu 0xfffe
	s_delay_alu instid0(SALU_CYCLE_1) | instskip(SKIP_1) | instid1(SALU_CYCLE_2)
	s_cvt_u32_f32 s22, s2
	s_wait_alu 0xfffe
	s_mul_u64 s[26:27], s[24:25], s[22:23]
	s_wait_alu 0xfffe
	s_mul_hi_u32 s29, s22, s27
	s_mul_i32 s28, s22, s27
	s_mul_hi_u32 s2, s22, s26
	s_mul_i32 s30, s23, s26
	s_wait_alu 0xfffe
	s_add_nc_u64 s[28:29], s[2:3], s[28:29]
	s_mul_hi_u32 s21, s23, s26
	s_mul_hi_u32 s31, s23, s27
	s_add_co_u32 s2, s28, s30
	s_wait_alu 0xfffe
	s_add_co_ci_u32 s2, s29, s21
	s_mul_i32 s26, s23, s27
	s_add_co_ci_u32 s27, s31, 0
	s_wait_alu 0xfffe
	s_add_nc_u64 s[26:27], s[2:3], s[26:27]
	s_wait_alu 0xfffe
	v_add_co_u32 v4, s2, s22, s26
	s_delay_alu instid0(VALU_DEP_1) | instskip(SKIP_1) | instid1(VALU_DEP_1)
	s_cmp_lg_u32 s2, 0
	s_add_co_ci_u32 s23, s23, s27
	v_readfirstlane_b32 s22, v4
	s_wait_alu 0xfffe
	s_delay_alu instid0(VALU_DEP_1)
	s_mul_u64 s[24:25], s[24:25], s[22:23]
	s_wait_alu 0xfffe
	s_mul_hi_u32 s27, s22, s25
	s_mul_i32 s26, s22, s25
	s_mul_hi_u32 s2, s22, s24
	s_mul_i32 s28, s23, s24
	s_wait_alu 0xfffe
	s_add_nc_u64 s[26:27], s[2:3], s[26:27]
	s_mul_hi_u32 s21, s23, s24
	s_mul_hi_u32 s22, s23, s25
	s_wait_alu 0xfffe
	s_add_co_u32 s2, s26, s28
	s_add_co_ci_u32 s2, s27, s21
	s_mul_i32 s24, s23, s25
	s_add_co_ci_u32 s25, s22, 0
	s_wait_alu 0xfffe
	s_add_nc_u64 s[24:25], s[2:3], s[24:25]
	s_wait_alu 0xfffe
	v_add_co_u32 v4, s2, v4, s24
	s_delay_alu instid0(VALU_DEP_1) | instskip(SKIP_1) | instid1(VALU_DEP_1)
	s_cmp_lg_u32 s2, 0
	s_add_co_ci_u32 s2, s23, s25
	v_mul_hi_u32 v13, v5, v4
	s_wait_alu 0xfffe
	v_mad_co_u64_u32 v[7:8], null, v5, s2, 0
	v_mad_co_u64_u32 v[9:10], null, v6, v4, 0
	;; [unrolled: 1-line block ×3, first 2 shown]
	s_delay_alu instid0(VALU_DEP_3) | instskip(SKIP_1) | instid1(VALU_DEP_4)
	v_add_co_u32 v4, vcc_lo, v13, v7
	s_wait_alu 0xfffd
	v_add_co_ci_u32_e32 v7, vcc_lo, 0, v8, vcc_lo
	s_delay_alu instid0(VALU_DEP_2) | instskip(SKIP_1) | instid1(VALU_DEP_2)
	v_add_co_u32 v4, vcc_lo, v4, v9
	s_wait_alu 0xfffd
	v_add_co_ci_u32_e32 v4, vcc_lo, v7, v10, vcc_lo
	s_wait_alu 0xfffd
	v_add_co_ci_u32_e32 v7, vcc_lo, 0, v12, vcc_lo
	s_delay_alu instid0(VALU_DEP_2) | instskip(SKIP_1) | instid1(VALU_DEP_2)
	v_add_co_u32 v4, vcc_lo, v4, v11
	s_wait_alu 0xfffd
	v_add_co_ci_u32_e32 v9, vcc_lo, 0, v7, vcc_lo
	s_delay_alu instid0(VALU_DEP_2) | instskip(SKIP_1) | instid1(VALU_DEP_3)
	v_mul_lo_u32 v10, s19, v4
	v_mad_co_u64_u32 v[7:8], null, s18, v4, 0
	v_mul_lo_u32 v11, s18, v9
	s_delay_alu instid0(VALU_DEP_2) | instskip(NEXT) | instid1(VALU_DEP_2)
	v_sub_co_u32 v7, vcc_lo, v5, v7
	v_add3_u32 v8, v8, v11, v10
	s_delay_alu instid0(VALU_DEP_1) | instskip(SKIP_1) | instid1(VALU_DEP_1)
	v_sub_nc_u32_e32 v10, v6, v8
	s_wait_alu 0xfffd
	v_subrev_co_ci_u32_e64 v10, s2, s19, v10, vcc_lo
	v_add_co_u32 v11, s2, v4, 2
	s_wait_alu 0xf1ff
	v_add_co_ci_u32_e64 v12, s2, 0, v9, s2
	v_sub_co_u32 v13, s2, v7, s18
	v_sub_co_ci_u32_e32 v8, vcc_lo, v6, v8, vcc_lo
	s_wait_alu 0xf1ff
	v_subrev_co_ci_u32_e64 v10, s2, 0, v10, s2
	s_delay_alu instid0(VALU_DEP_3) | instskip(NEXT) | instid1(VALU_DEP_3)
	v_cmp_le_u32_e32 vcc_lo, s18, v13
	v_cmp_eq_u32_e64 s2, s19, v8
	s_wait_alu 0xfffd
	v_cndmask_b32_e64 v13, 0, -1, vcc_lo
	v_cmp_le_u32_e32 vcc_lo, s19, v10
	s_wait_alu 0xfffd
	v_cndmask_b32_e64 v14, 0, -1, vcc_lo
	v_cmp_le_u32_e32 vcc_lo, s18, v7
	;; [unrolled: 3-line block ×3, first 2 shown]
	s_wait_alu 0xfffd
	v_cndmask_b32_e64 v15, 0, -1, vcc_lo
	v_cmp_eq_u32_e32 vcc_lo, s19, v10
	s_wait_alu 0xf1ff
	s_delay_alu instid0(VALU_DEP_2)
	v_cndmask_b32_e64 v7, v15, v7, s2
	s_wait_alu 0xfffd
	v_cndmask_b32_e32 v10, v14, v13, vcc_lo
	v_add_co_u32 v13, vcc_lo, v4, 1
	s_wait_alu 0xfffd
	v_add_co_ci_u32_e32 v14, vcc_lo, 0, v9, vcc_lo
	s_delay_alu instid0(VALU_DEP_3) | instskip(SKIP_2) | instid1(VALU_DEP_3)
	v_cmp_ne_u32_e32 vcc_lo, 0, v10
	s_wait_alu 0xfffd
	v_cndmask_b32_e32 v10, v13, v11, vcc_lo
	v_cndmask_b32_e32 v8, v14, v12, vcc_lo
	v_cmp_ne_u32_e32 vcc_lo, 0, v7
	s_wait_alu 0xfffd
	s_delay_alu instid0(VALU_DEP_2)
	v_dual_cndmask_b32 v7, v4, v10 :: v_dual_cndmask_b32 v8, v9, v8
.LBB0_4:                                ;   in Loop: Header=BB0_2 Depth=1
	s_wait_alu 0xfffe
	s_and_not1_saveexec_b32 s2, s20
	s_cbranch_execz .LBB0_6
; %bb.5:                                ;   in Loop: Header=BB0_2 Depth=1
	v_cvt_f32_u32_e32 v4, s18
	s_sub_co_i32 s20, 0, s18
	s_delay_alu instid0(VALU_DEP_1) | instskip(NEXT) | instid1(TRANS32_DEP_1)
	v_rcp_iflag_f32_e32 v4, v4
	v_mul_f32_e32 v4, 0x4f7ffffe, v4
	s_delay_alu instid0(VALU_DEP_1) | instskip(SKIP_1) | instid1(VALU_DEP_1)
	v_cvt_u32_f32_e32 v4, v4
	s_wait_alu 0xfffe
	v_mul_lo_u32 v7, s20, v4
	s_delay_alu instid0(VALU_DEP_1) | instskip(NEXT) | instid1(VALU_DEP_1)
	v_mul_hi_u32 v7, v4, v7
	v_add_nc_u32_e32 v4, v4, v7
	s_delay_alu instid0(VALU_DEP_1) | instskip(NEXT) | instid1(VALU_DEP_1)
	v_mul_hi_u32 v4, v5, v4
	v_mul_lo_u32 v7, v4, s18
	v_add_nc_u32_e32 v8, 1, v4
	s_delay_alu instid0(VALU_DEP_2) | instskip(NEXT) | instid1(VALU_DEP_1)
	v_sub_nc_u32_e32 v7, v5, v7
	v_subrev_nc_u32_e32 v9, s18, v7
	v_cmp_le_u32_e32 vcc_lo, s18, v7
	s_wait_alu 0xfffd
	s_delay_alu instid0(VALU_DEP_2) | instskip(NEXT) | instid1(VALU_DEP_1)
	v_dual_cndmask_b32 v7, v7, v9 :: v_dual_cndmask_b32 v4, v4, v8
	v_cmp_le_u32_e32 vcc_lo, s18, v7
	s_delay_alu instid0(VALU_DEP_2) | instskip(SKIP_1) | instid1(VALU_DEP_1)
	v_add_nc_u32_e32 v8, 1, v4
	s_wait_alu 0xfffd
	v_dual_cndmask_b32 v7, v4, v8 :: v_dual_mov_b32 v8, v3
.LBB0_6:                                ;   in Loop: Header=BB0_2 Depth=1
	s_wait_alu 0xfffe
	s_or_b32 exec_lo, exec_lo, s2
	s_load_b64 s[20:21], s[12:13], 0x0
	s_delay_alu instid0(VALU_DEP_1)
	v_mul_lo_u32 v4, v8, s18
	v_mul_lo_u32 v11, v7, s19
	v_mad_co_u64_u32 v[9:10], null, v7, s18, 0
	s_add_nc_u64 s[14:15], s[14:15], 1
	s_add_nc_u64 s[12:13], s[12:13], 8
	s_wait_alu 0xfffe
	v_cmp_ge_u64_e64 s2, s[14:15], s[6:7]
	s_add_nc_u64 s[16:17], s[16:17], 8
	s_delay_alu instid0(VALU_DEP_2) | instskip(NEXT) | instid1(VALU_DEP_3)
	v_add3_u32 v4, v10, v11, v4
	v_sub_co_u32 v5, vcc_lo, v5, v9
	s_wait_alu 0xfffd
	s_delay_alu instid0(VALU_DEP_2) | instskip(SKIP_3) | instid1(VALU_DEP_2)
	v_sub_co_ci_u32_e32 v4, vcc_lo, v6, v4, vcc_lo
	s_and_b32 vcc_lo, exec_lo, s2
	s_wait_kmcnt 0x0
	v_mul_lo_u32 v6, s21, v5
	v_mul_lo_u32 v4, s20, v4
	v_mad_co_u64_u32 v[1:2], null, s20, v5, v[1:2]
	s_delay_alu instid0(VALU_DEP_1)
	v_add3_u32 v2, v6, v2, v4
	s_wait_alu 0xfffe
	s_cbranch_vccnz .LBB0_9
; %bb.7:                                ;   in Loop: Header=BB0_2 Depth=1
	v_dual_mov_b32 v5, v7 :: v_dual_mov_b32 v6, v8
	s_branch .LBB0_2
.LBB0_8:
	v_dual_mov_b32 v8, v6 :: v_dual_mov_b32 v7, v5
.LBB0_9:
	s_lshl_b64 s[2:3], s[6:7], 3
	v_mul_hi_u32 v5, 0x97b425f, v0
	s_wait_alu 0xfffe
	s_add_nc_u64 s[2:3], s[10:11], s[2:3]
                                        ; implicit-def: $vgpr52_vgpr53
                                        ; implicit-def: $vgpr20_vgpr21
                                        ; implicit-def: $vgpr28_vgpr29
                                        ; implicit-def: $vgpr12_vgpr13
                                        ; implicit-def: $vgpr40_vgpr41
                                        ; implicit-def: $vgpr36_vgpr37
                                        ; implicit-def: $vgpr64_vgpr65
                                        ; implicit-def: $vgpr44_vgpr45
                                        ; implicit-def: $vgpr68_vgpr69
                                        ; implicit-def: $vgpr72_vgpr73
                                        ; implicit-def: $vgpr56_vgpr57
                                        ; implicit-def: $vgpr24_vgpr25
                                        ; implicit-def: $vgpr16_vgpr17
                                        ; implicit-def: $vgpr60_vgpr61
                                        ; implicit-def: $vgpr48_vgpr49
                                        ; implicit-def: $vgpr32_vgpr33
	s_load_b64 s[2:3], s[2:3], 0x0
	s_load_b64 s[0:1], s[0:1], 0x20
	s_wait_kmcnt 0x0
	v_mul_lo_u32 v3, s2, v8
	v_mul_lo_u32 v4, s3, v7
	v_mad_co_u64_u32 v[1:2], null, s2, v7, v[1:2]
	v_cmp_gt_u64_e64 s0, s[0:1], v[7:8]
                                        ; implicit-def: $vgpr8_vgpr9
	s_delay_alu instid0(VALU_DEP_2) | instskip(SKIP_1) | instid1(VALU_DEP_2)
	v_add3_u32 v2, v4, v2, v3
	v_mul_u32_u24_e32 v3, 27, v5
	v_lshlrev_b64_e32 v[76:77], 4, v[1:2]
	s_delay_alu instid0(VALU_DEP_2)
	v_sub_nc_u32_e32 v74, v0, v3
                                        ; implicit-def: $vgpr2_vgpr3
	s_and_saveexec_b32 s1, s0
	s_cbranch_execz .LBB0_13
; %bb.10:
	v_mov_b32_e32 v75, 0
	s_delay_alu instid0(VALU_DEP_3) | instskip(SKIP_2) | instid1(VALU_DEP_3)
	v_add_co_u32 v2, vcc_lo, s8, v76
	s_wait_alu 0xfffd
	v_add_co_ci_u32_e32 v3, vcc_lo, s9, v77, vcc_lo
	v_lshlrev_b64_e32 v[0:1], 4, v[74:75]
	s_mov_b32 s2, exec_lo
                                        ; implicit-def: $vgpr6_vgpr7
                                        ; implicit-def: $vgpr14_vgpr15
                                        ; implicit-def: $vgpr22_vgpr23
	s_delay_alu instid0(VALU_DEP_1) | instskip(SKIP_1) | instid1(VALU_DEP_2)
	v_add_co_u32 v4, vcc_lo, v2, v0
	s_wait_alu 0xfffd
	v_add_co_ci_u32_e32 v5, vcc_lo, v3, v1, vcc_lo
	s_clause 0xe
	global_load_b128 v[30:33], v[4:5], off
	global_load_b128 v[18:21], v[4:5], off offset:432
	global_load_b128 v[0:3], v[4:5], off offset:4608
	;; [unrolled: 1-line block ×14, first 2 shown]
	v_cmpx_gt_u32_e32 9, v74
; %bb.11:
	s_clause 0x2
	global_load_b128 v[6:9], v[4:5], off offset:2160
	global_load_b128 v[14:17], v[4:5], off offset:4464
	;; [unrolled: 1-line block ×3, first 2 shown]
; %bb.12:
	s_wait_alu 0xfffe
	s_or_b32 exec_lo, exec_lo, s2
.LBB0_13:
	s_wait_alu 0xfffe
	s_or_b32 exec_lo, exec_lo, s1
	s_wait_loadcnt 0x4
	v_add_f64_e32 v[4:5], v[50:51], v[0:1]
	v_add_f64_e32 v[78:79], v[26:27], v[10:11]
	;; [unrolled: 1-line block ×3, first 2 shown]
	s_wait_loadcnt 0x2
	v_add_f64_e32 v[83:84], v[62:63], v[42:43]
	s_wait_loadcnt 0x0
	v_add_f64_e32 v[85:86], v[70:71], v[54:55]
	v_add_f64_e32 v[87:88], v[22:23], v[14:15]
	;; [unrolled: 1-line block ×3, first 2 shown]
	v_add_f64_e64 v[91:92], v[52:53], -v[2:3]
	v_add_f64_e32 v[93:94], v[18:19], v[26:27]
	v_add_f64_e32 v[97:98], v[38:39], v[46:47]
	;; [unrolled: 1-line block ×4, first 2 shown]
	v_add_f64_e64 v[95:96], v[28:29], -v[12:13]
	s_mov_b32 s2, 0xe8584caa
	s_mov_b32 s3, 0x3febb67a
	;; [unrolled: 1-line block ×3, first 2 shown]
	s_wait_alu 0xfffe
	s_mov_b32 s6, s2
	v_fma_f64 v[4:5], v[4:5], -0.5, v[30:31]
	v_fma_f64 v[18:19], v[78:79], -0.5, v[18:19]
	v_add_f64_e64 v[78:79], v[64:65], -v[44:45]
	v_fma_f64 v[46:47], v[81:82], -0.5, v[46:47]
	v_fma_f64 v[58:59], v[83:84], -0.5, v[58:59]
	v_add_f64_e64 v[81:82], v[72:73], -v[56:57]
	v_fma_f64 v[66:67], v[85:86], -0.5, v[66:67]
	v_add_f64_e64 v[83:84], v[16:17], -v[24:25]
	;; [unrolled: 2-line block ×3, first 2 shown]
	v_add_f64_e32 v[87:88], v[0:1], v[89:90]
	v_add_f64_e32 v[89:90], v[93:94], v[10:11]
	;; [unrolled: 1-line block ×5, first 2 shown]
	v_fma_f64 v[101:102], v[91:92], s[2:3], v[4:5]
	v_fma_f64 v[103:104], v[95:96], s[2:3], v[18:19]
	s_wait_alu 0xfffe
	v_fma_f64 v[91:92], v[91:92], s[6:7], v[4:5]
	v_fma_f64 v[18:19], v[95:96], s[6:7], v[18:19]
	;; [unrolled: 1-line block ×10, first 2 shown]
	v_and_b32_e32 v4, 1, v80
	v_mad_u32_u24 v46, v74, 24, 0
	s_delay_alu instid0(VALU_DEP_2) | instskip(NEXT) | instid1(VALU_DEP_2)
	v_cmp_eq_u32_e32 vcc_lo, 1, v4
	v_add_nc_u32_e32 v5, 0xa20, v46
	s_wait_alu 0xfffd
	v_cndmask_b32_e64 v4, 0, 0x1b0, vcc_lo
	v_cmp_gt_u32_e32 vcc_lo, 9, v74
	s_delay_alu instid0(VALU_DEP_2) | instskip(NEXT) | instid1(VALU_DEP_1)
	v_lshlrev_b32_e32 v75, 3, v4
	v_add_nc_u32_e32 v58, v46, v75
	v_add_nc_u32_e32 v46, v5, v75
	ds_store_2addr_b64 v58, v[87:88], v[101:102] offset1:1
	ds_store_2addr_b64 v58, v[89:90], v[103:104] offset0:81 offset1:82
	ds_store_2addr_b64 v58, v[91:92], v[18:19] offset0:2 offset1:83
	;; [unrolled: 1-line block ×5, first 2 shown]
	ds_store_b64 v46, v[99:100]
	ds_store_2addr_b64 v46, v[109:110], v[81:82] offset0:1 offset1:2
	v_add_nc_u32_e32 v80, 0x288, v58
	v_add_nc_u32_e32 v59, 0x510, v58
	;; [unrolled: 1-line block ×3, first 2 shown]
	s_and_saveexec_b32 s1, vcc_lo
	s_cbranch_execz .LBB0_15
; %bb.14:
	v_add_f64_e32 v[6:7], v[14:15], v[6:7]
	v_lshl_add_u32 v4, v4, 3, v5
	s_delay_alu instid0(VALU_DEP_2)
	v_add_f64_e32 v[6:7], v[22:23], v[6:7]
	ds_store_b64 v4, v[6:7] offset:648
	ds_store_2addr_b64 v4, v[66:67], v[78:79] offset0:82 offset1:83
.LBB0_15:
	s_wait_alu 0xfffe
	s_or_b32 exec_lo, exec_lo, s1
	v_add_f64_e32 v[4:5], v[52:53], v[2:3]
	v_add_f64_e32 v[83:84], v[24:25], v[16:17]
	;; [unrolled: 1-line block ×7, first 2 shown]
	v_add_f64_e64 v[0:1], v[50:51], -v[0:1]
	v_add_f64_e64 v[14:15], v[14:15], -v[22:23]
	v_add_f64_e32 v[50:51], v[64:65], v[60:61]
	v_add_f64_e32 v[64:65], v[68:69], v[72:73]
	;; [unrolled: 1-line block ×3, first 2 shown]
	v_add_f64_e64 v[10:11], v[26:27], -v[10:11]
	v_add_f64_e32 v[40:41], v[40:41], v[48:49]
	v_add_f64_e64 v[26:27], v[62:63], -v[42:43]
	global_wb scope:SCOPE_SE
	s_wait_dscnt 0x0
	s_barrier_signal -1
	s_barrier_wait -1
	global_inv scope:SCOPE_SE
	v_add_nc_u32_e32 v106, 0x87, v74
	v_fma_f64 v[4:5], v[4:5], -0.5, v[32:33]
	v_fma_f64 v[22:23], v[83:84], -0.5, v[8:9]
	;; [unrolled: 1-line block ×3, first 2 shown]
	v_add_f64_e64 v[20:21], v[38:39], -v[34:35]
	v_fma_f64 v[18:19], v[18:19], -0.5, v[48:49]
	v_fma_f64 v[30:31], v[30:31], -0.5, v[60:61]
	v_add_f64_e64 v[32:33], v[70:71], -v[54:55]
	v_fma_f64 v[34:35], v[81:82], -0.5, v[68:69]
	v_lshlrev_b32_e32 v38, 3, v74
	v_add_f64_e32 v[42:43], v[2:3], v[52:53]
	v_add_f64_e32 v[44:45], v[44:45], v[50:51]
	;; [unrolled: 1-line block ×4, first 2 shown]
	v_add_nc_u32_e32 v39, 0, v38
	v_add_f64_e32 v[52:53], v[36:37], v[40:41]
	v_add3_u32 v108, 0, v75, v38
	s_delay_alu instid0(VALU_DEP_3)
	v_add_nc_u32_e32 v107, v39, v75
	v_fma_f64 v[54:55], v[0:1], s[6:7], v[4:5]
	v_fma_f64 v[2:3], v[14:15], s[6:7], v[22:23]
	;; [unrolled: 1-line block ×12, first 2 shown]
	v_add_nc_u32_e32 v23, 0x400, v107
	v_add_nc_u32_e32 v22, 0x800, v107
	ds_load_2addr_b64 v[38:41], v107 offset0:27 offset1:54
	ds_load_2addr_b64 v[34:37], v107 offset0:81 offset1:108
	;; [unrolled: 1-line block ×4, first 2 shown]
	ds_load_b64 v[0:1], v108
	ds_load_b64 v[14:15], v107 offset:3240
	ds_load_2addr_b64 v[30:33], v23 offset0:115 offset1:142
	ds_load_2addr_b64 v[26:29], v22 offset0:41 offset1:68
	;; [unrolled: 1-line block ×3, first 2 shown]
	global_wb scope:SCOPE_SE
	s_wait_dscnt 0x0
	s_barrier_signal -1
	s_barrier_wait -1
	global_inv scope:SCOPE_SE
	ds_store_2addr_b64 v58, v[42:43], v[54:55] offset1:1
	ds_store_b64 v58, v[56:57] offset:16
	ds_store_2addr_b64 v80, v[48:49], v[60:61] offset1:1
	ds_store_b64 v80, v[62:63] offset:16
	;; [unrolled: 2-line block ×4, first 2 shown]
	ds_store_b64 v46, v[50:51]
	ds_store_2addr_b64 v46, v[83:84], v[85:86] offset0:1 offset1:2
	s_and_saveexec_b32 s1, vcc_lo
	s_cbranch_execz .LBB0_17
; %bb.16:
	v_add_f64_e32 v[8:9], v[16:17], v[8:9]
	v_mul_u32_u24_e32 v16, 24, v106
	s_delay_alu instid0(VALU_DEP_1) | instskip(NEXT) | instid1(VALU_DEP_3)
	v_add3_u32 v16, 0, v16, v75
	v_add_f64_e32 v[8:9], v[24:25], v[8:9]
	ds_store_2addr_b64 v16, v[8:9], v[2:3] offset1:1
	ds_store_b64 v16, v[68:69] offset:16
.LBB0_17:
	s_wait_alu 0xfffe
	s_or_b32 exec_lo, exec_lo, s1
	v_and_b32_e32 v8, 0xff, v74
	global_wb scope:SCOPE_SE
	s_wait_dscnt 0x0
	s_barrier_signal -1
	s_barrier_wait -1
	global_inv scope:SCOPE_SE
	v_mul_lo_u16 v8, 0xab, v8
	s_mov_b32 s14, 0x667f3bcd
	s_mov_b32 s15, 0x3fe6a09e
	;; [unrolled: 1-line block ×3, first 2 shown]
	s_wait_alu 0xfffe
	s_mov_b32 s16, s14
	v_lshrrev_b16 v16, 9, v8
	s_mov_b32 s10, 0xcf328d46
	s_mov_b32 s11, 0xbfed906b
	;; [unrolled: 1-line block ×4, first 2 shown]
	v_mul_lo_u16 v8, v16, 3
	s_mov_b32 s12, 0xa6aea964
	s_mov_b32 s13, 0xbfd87de2
	;; [unrolled: 1-line block ×4, first 2 shown]
	v_sub_nc_u16 v8, v74, v8
	v_and_b32_e32 v16, 0xffff, v16
	s_delay_alu instid0(VALU_DEP_2) | instskip(NEXT) | instid1(VALU_DEP_2)
	v_and_b32_e32 v17, 0xff, v8
	v_mul_u32_u24_e32 v16, 48, v16
	s_delay_alu instid0(VALU_DEP_2) | instskip(NEXT) | instid1(VALU_DEP_2)
	v_mul_u32_u24_e32 v8, 15, v17
	v_or_b32_e32 v16, v16, v17
	s_delay_alu instid0(VALU_DEP_2) | instskip(NEXT) | instid1(VALU_DEP_2)
	v_lshlrev_b32_e32 v8, 4, v8
	v_lshlrev_b32_e32 v16, 3, v16
	s_clause 0xe
	global_load_b128 v[42:45], v8, s[4:5]
	global_load_b128 v[50:53], v8, s[4:5] offset:16
	global_load_b128 v[54:57], v8, s[4:5] offset:32
	;; [unrolled: 1-line block ×14, first 2 shown]
	ds_load_2addr_b64 v[117:120], v107 offset0:27 offset1:54
	ds_load_2addr_b64 v[121:124], v107 offset0:81 offset1:108
	;; [unrolled: 1-line block ×4, first 2 shown]
	s_wait_loadcnt_dscnt 0xe03
	v_mul_f64_e32 v[8:9], v[117:118], v[44:45]
	v_mul_f64_e32 v[24:25], v[38:39], v[44:45]
	s_wait_loadcnt 0xd
	v_mul_f64_e32 v[44:45], v[119:120], v[52:53]
	v_mul_f64_e32 v[52:53], v[40:41], v[52:53]
	s_wait_loadcnt_dscnt 0xc02
	v_mul_f64_e32 v[104:105], v[121:122], v[56:57]
	v_mul_f64_e32 v[56:57], v[34:35], v[56:57]
	s_wait_loadcnt 0xb
	v_mul_f64_e32 v[133:134], v[123:124], v[60:61]
	v_mul_f64_e32 v[60:61], v[36:37], v[60:61]
	s_wait_loadcnt 0xa
	v_mul_f64_e32 v[135:136], v[10:11], v[64:65]
	s_wait_loadcnt_dscnt 0x801
	v_mul_f64_e32 v[139:140], v[125:126], v[82:83]
	s_wait_loadcnt_dscnt 0x500
	v_mul_f64_e32 v[143:144], v[131:132], v[94:95]
	v_mul_f64_e32 v[94:95], v[28:29], v[94:95]
	;; [unrolled: 1-line block ×3, first 2 shown]
	v_fma_f64 v[141:142], v[38:39], v[42:43], -v[8:9]
	v_fma_f64 v[24:25], v[117:118], v[42:43], v[24:25]
	v_mul_f64_e32 v[42:43], v[127:128], v[86:87]
	v_fma_f64 v[44:45], v[40:41], v[50:51], -v[44:45]
	v_fma_f64 v[117:118], v[119:120], v[50:51], v[52:53]
	ds_load_2addr_b64 v[50:53], v107 offset0:189 offset1:216
	ds_load_2addr_b64 v[38:41], v107 offset0:135 offset1:162
	v_mul_f64_e32 v[119:120], v[129:130], v[90:91]
	v_fma_f64 v[34:35], v[34:35], v[54:55], -v[104:105]
	v_fma_f64 v[56:57], v[121:122], v[54:55], v[56:57]
	s_wait_loadcnt 0x4
	v_mul_f64_e32 v[104:105], v[18:19], v[98:99]
	s_wait_loadcnt 0x3
	v_mul_f64_e32 v[121:122], v[20:21], v[102:103]
	v_fma_f64 v[36:37], v[36:37], v[58:59], -v[133:134]
	v_fma_f64 v[8:9], v[123:124], v[58:59], v[60:61]
	v_mul_f64_e32 v[60:61], v[30:31], v[82:83]
	s_wait_loadcnt 0x1
	v_mul_f64_e32 v[82:83], v[14:15], v[111:112]
	s_wait_loadcnt 0x0
	v_mul_f64_e32 v[123:124], v[4:5], v[115:116]
	v_mul_f64_e32 v[86:87], v[32:33], v[86:87]
	v_fma_f64 v[133:134], v[30:31], v[80:81], -v[139:140]
	v_fma_f64 v[28:29], v[28:29], v[92:93], -v[143:144]
	s_wait_dscnt 0x1
	v_mul_f64_e32 v[58:59], v[52:53], v[48:49]
	s_wait_dscnt 0x0
	v_mul_f64_e32 v[64:65], v[38:39], v[64:65]
	v_fma_f64 v[38:39], v[38:39], v[62:63], v[135:136]
	v_mul_f64_e32 v[72:73], v[40:41], v[72:73]
	v_fma_f64 v[40:41], v[40:41], v[70:71], v[137:138]
	v_fma_f64 v[42:43], v[32:33], v[84:85], -v[42:43]
	ds_load_b64 v[135:136], v107 offset:3240
	ds_load_2addr_b64 v[30:33], v22 offset0:95 offset1:122
	ds_load_b64 v[54:55], v108
	global_wb scope:SCOPE_SE
	s_wait_dscnt 0x0
	s_barrier_signal -1
	v_fma_f64 v[119:120], v[26:27], v[88:89], -v[119:120]
	v_mul_f64_e32 v[26:27], v[26:27], v[90:91]
	v_fma_f64 v[90:91], v[131:132], v[92:93], v[94:95]
	s_barrier_wait -1
	global_inv scope:SCOPE_SE
	v_fma_f64 v[60:61], v[125:126], v[80:81], v[60:61]
	v_mul_f64_e32 v[92:93], v[135:136], v[111:112]
	v_mul_f64_e32 v[94:95], v[30:31], v[98:99]
	v_fma_f64 v[30:31], v[30:31], v[96:97], v[104:105]
	v_fma_f64 v[98:99], v[32:33], v[100:101], v[121:122]
	v_mul_f64_e32 v[32:33], v[32:33], v[102:103]
	v_mul_f64_e32 v[102:103], v[50:51], v[115:116]
	v_fma_f64 v[58:59], v[6:7], v[46:47], -v[58:59]
	v_fma_f64 v[82:83], v[135:136], v[109:110], v[82:83]
	v_fma_f64 v[50:51], v[50:51], v[113:114], v[123:124]
	v_fma_f64 v[62:63], v[10:11], v[62:63], -v[64:65]
	v_fma_f64 v[64:65], v[127:128], v[84:85], v[86:87]
	v_fma_f64 v[70:71], v[12:13], v[70:71], -v[72:73]
	v_add_f64_e64 v[12:13], v[36:37], -v[28:29]
	v_add_f64_e64 v[42:43], v[44:45], -v[42:43]
	v_fma_f64 v[26:27], v[129:130], v[88:89], v[26:27]
	v_add_f64_e64 v[10:11], v[8:9], -v[90:91]
	v_fma_f64 v[14:15], v[14:15], v[109:110], -v[92:93]
	v_fma_f64 v[18:19], v[18:19], v[96:97], -v[94:95]
	v_add_f64_e64 v[30:31], v[38:39], -v[30:31]
	v_add_f64_e64 v[80:81], v[40:41], -v[98:99]
	v_fma_f64 v[20:21], v[20:21], v[100:101], -v[32:33]
	v_fma_f64 v[4:5], v[4:5], v[113:114], -v[102:103]
	v_add_f64_e64 v[32:33], v[0:1], -v[58:59]
	v_add_f64_e64 v[58:59], v[34:35], -v[119:120]
	;; [unrolled: 1-line block ×6, first 2 shown]
	v_fma_f64 v[36:37], v[36:37], 2.0, -v[12:13]
	v_add_f64_e64 v[26:27], v[56:57], -v[26:27]
	v_add_f64_e64 v[18:19], v[62:63], -v[18:19]
	;; [unrolled: 1-line block ×6, first 2 shown]
	v_fma_f64 v[92:93], v[0:1], 2.0, -v[32:33]
	v_add_f64_e64 v[84:85], v[58:59], -v[72:73]
	v_add_f64_e64 v[88:89], v[82:83], -v[30:31]
	v_fma_f64 v[0:1], v[117:118], 2.0, -v[28:29]
	v_fma_f64 v[40:41], v[40:41], 2.0, -v[80:81]
	;; [unrolled: 1-line block ×9, first 2 shown]
	v_add_f64_e32 v[18:19], v[64:65], v[18:19]
	v_add_f64_e32 v[102:103], v[28:29], v[20:21]
	;; [unrolled: 1-line block ×3, first 2 shown]
	v_fma_f64 v[4:5], v[4:5], 2.0, -v[14:15]
	v_fma_f64 v[14:15], v[70:71], 2.0, -v[20:21]
	;; [unrolled: 1-line block ×7, first 2 shown]
	v_add_f64_e64 v[36:37], v[92:93], -v[36:37]
	v_add_f64_e64 v[60:61], v[0:1], -v[40:41]
	v_fma_f64 v[38:39], v[90:91], s[14:15], v[86:87]
	v_fma_f64 v[40:41], v[84:85], s[14:15], v[88:89]
	v_add_f64_e64 v[30:31], v[24:25], -v[30:31]
	v_add_f64_e64 v[70:71], v[98:99], -v[50:51]
	;; [unrolled: 1-line block ×3, first 2 shown]
	v_fma_f64 v[100:101], v[64:65], 2.0, -v[18:19]
	v_fma_f64 v[28:29], v[28:29], 2.0, -v[102:103]
	;; [unrolled: 1-line block ×3, first 2 shown]
	v_add_f64_e64 v[4:5], v[34:35], -v[4:5]
	v_fma_f64 v[62:63], v[96:97], s[14:15], v[18:19]
	v_add_f64_e64 v[80:81], v[20:21], -v[14:15]
	v_fma_f64 v[14:15], v[42:43], s[16:17], v[32:33]
	v_fma_f64 v[56:57], v[44:45], s[16:17], v[72:73]
	v_fma_f64 v[92:93], v[92:93], 2.0, -v[36:37]
	v_fma_f64 v[38:39], v[102:103], s[16:17], v[38:39]
	v_fma_f64 v[50:51], v[96:97], s[16:17], v[40:41]
	v_add_f64_e64 v[40:41], v[36:37], -v[60:61]
	v_fma_f64 v[64:65], v[24:25], 2.0, -v[30:31]
	v_mul_f64_e32 v[102:103], s[14:15], v[102:103]
	v_add_f64_e64 v[96:97], v[58:59], -v[70:71]
	v_fma_f64 v[94:95], v[94:95], 2.0, -v[58:59]
	v_fma_f64 v[82:83], v[26:27], s[16:17], v[100:101]
	v_fma_f64 v[34:35], v[34:35], 2.0, -v[4:5]
	v_fma_f64 v[62:63], v[84:85], s[14:15], v[62:63]
	v_fma_f64 v[20:21], v[20:21], 2.0, -v[80:81]
	v_add_f64_e32 v[4:5], v[30:31], v[4:5]
	v_fma_f64 v[104:105], v[28:29], s[16:17], v[14:15]
	v_fma_f64 v[56:57], v[26:27], s[16:17], v[56:57]
	v_fma_f64 v[14:15], v[98:99], 2.0, -v[70:71]
	v_fma_f64 v[26:27], v[86:87], 2.0, -v[38:39]
	;; [unrolled: 1-line block ×5, first 2 shown]
	v_fma_f64 v[70:71], v[44:45], s[14:15], v[82:83]
	v_add_f64_e64 v[82:83], v[94:95], -v[34:35]
	v_fma_f64 v[34:35], v[96:97], s[14:15], v[40:41]
	v_add_f64_e64 v[20:21], v[92:93], -v[20:21]
	s_wait_alu 0xfffe
	v_fma_f64 v[44:45], v[50:51], s[6:7], v[38:39]
	v_fma_f64 v[30:31], v[30:31], 2.0, -v[4:5]
	v_fma_f64 v[32:33], v[32:33], 2.0, -v[104:105]
	;; [unrolled: 1-line block ×4, first 2 shown]
	v_add_f64_e64 v[86:87], v[64:65], -v[14:15]
	v_fma_f64 v[109:110], v[56:57], s[2:3], v[104:105]
	v_fma_f64 v[18:19], v[36:37], s[16:17], v[24:25]
	;; [unrolled: 1-line block ×3, first 2 shown]
	v_fma_f64 v[88:89], v[100:101], 2.0, -v[70:71]
	v_fma_f64 v[94:95], v[94:95], 2.0, -v[82:83]
	v_fma_f64 v[34:35], v[4:5], s[16:17], v[34:35]
	v_fma_f64 v[92:93], v[92:93], 2.0, -v[20:21]
	v_fma_f64 v[14:15], v[62:63], s[12:13], v[44:45]
	v_fma_f64 v[100:101], v[72:73], s[10:11], v[32:33]
	v_add_f64_e64 v[44:45], v[20:21], -v[86:87]
	v_fma_f64 v[113:114], v[70:71], s[10:11], v[109:110]
	v_add3_u32 v109, 0, v16, v75
	v_fma_f64 v[18:19], v[30:31], s[16:17], v[18:19]
	v_fma_f64 v[111:112], v[84:85], s[10:11], v[98:99]
	v_mul_f64_e32 v[98:99], s[14:15], v[42:43]
	v_fma_f64 v[40:41], v[40:41], 2.0, -v[34:35]
	v_add_f64_e64 v[115:116], v[92:93], -v[94:95]
	v_fma_f64 v[38:39], v[38:39], 2.0, -v[14:15]
	v_mul_f64_e32 v[94:95], s[14:15], v[30:31]
	v_fma_f64 v[117:118], v[88:89], s[12:13], v[100:101]
	v_mul_f64_e32 v[100:101], s[14:15], v[90:91]
	v_fma_f64 v[20:21], v[20:21], 2.0, -v[44:45]
	v_fma_f64 v[119:120], v[104:105], 2.0, -v[113:114]
	v_mul_f64_e32 v[104:105], s[14:15], v[28:29]
	v_mul_f64_e32 v[90:91], s[14:15], v[36:37]
	v_fma_f64 v[24:25], v[24:25], 2.0, -v[18:19]
	v_fma_f64 v[26:27], v[26:27], 2.0, -v[111:112]
	v_fma_f64 v[121:122], v[92:93], 2.0, -v[115:116]
	v_mul_f64_e32 v[92:93], s[14:15], v[96:97]
	v_mul_f64_e32 v[96:97], s[14:15], v[4:5]
	v_fma_f64 v[32:33], v[32:33], 2.0, -v[117:118]
	ds_store_2addr_b64 v109, v[34:35], v[14:15] offset0:42 offset1:45
	ds_store_2addr_b64 v109, v[40:41], v[38:39] offset0:18 offset1:21
	;; [unrolled: 1-line block ×7, first 2 shown]
	ds_store_2addr_b64 v109, v[121:122], v[32:33] offset1:3
	global_wb scope:SCOPE_SE
	s_wait_dscnt 0x0
	s_barrier_signal -1
	s_barrier_wait -1
	global_inv scope:SCOPE_SE
	ds_load_b64 v[4:5], v108
	ds_load_2addr_b64 v[42:45], v107 offset0:144 offset1:171
	ds_load_2addr_b64 v[26:29], v23 offset0:124 offset1:160
	;; [unrolled: 1-line block ×7, first 2 shown]
	s_and_saveexec_b32 s1, vcc_lo
	s_cbranch_execz .LBB0_19
; %bb.18:
	v_add_nc_u32_e32 v14, 0x400, v107
	ds_load_2addr_b64 v[14:17], v14 offset0:7 offset1:151
	ds_load_b64 v[78:79], v107 offset:3384
	s_wait_dscnt 0x1
	v_dual_mov_b32 v67, v17 :: v_dual_mov_b32 v66, v16
.LBB0_19:
	s_wait_alu 0xfffe
	s_or_b32 exec_lo, exec_lo, s1
	v_mul_f64_e32 v[6:7], v[6:7], v[48:49]
	v_fma_f64 v[8:9], v[8:9], 2.0, -v[10:11]
	v_fma_f64 v[0:1], v[0:1], 2.0, -v[60:61]
	;; [unrolled: 1-line block ×3, first 2 shown]
	global_wb scope:SCOPE_SE
	s_wait_dscnt 0x0
	s_barrier_signal -1
	s_barrier_wait -1
	global_inv scope:SCOPE_SE
	v_fma_f64 v[6:7], v[52:53], v[46:47], v[6:7]
	s_delay_alu instid0(VALU_DEP_1) | instskip(NEXT) | instid1(VALU_DEP_1)
	v_add_f64_e64 v[6:7], v[54:55], -v[6:7]
	v_add_f64_e32 v[12:13], v[6:7], v[12:13]
	v_fma_f64 v[10:11], v[54:55], 2.0, -v[6:7]
	s_delay_alu instid0(VALU_DEP_2) | instskip(NEXT) | instid1(VALU_DEP_2)
	v_fma_f64 v[6:7], v[6:7], 2.0, -v[12:13]
	v_add_f64_e64 v[8:9], v[10:11], -v[8:9]
	v_add_f64_e32 v[16:17], v[12:13], v[102:103]
	s_delay_alu instid0(VALU_DEP_3) | instskip(NEXT) | instid1(VALU_DEP_3)
	v_add_f64_e64 v[46:47], v[6:7], -v[104:105]
	v_add_f64_e32 v[48:49], v[8:9], v[80:81]
	s_delay_alu instid0(VALU_DEP_3) | instskip(SKIP_1) | instid1(VALU_DEP_4)
	v_add_f64_e32 v[16:17], v[100:101], v[16:17]
	v_fma_f64 v[10:11], v[10:11], 2.0, -v[8:9]
	v_add_f64_e32 v[46:47], v[98:99], v[46:47]
	s_delay_alu instid0(VALU_DEP_4) | instskip(NEXT) | instid1(VALU_DEP_4)
	v_fma_f64 v[8:9], v[8:9], 2.0, -v[48:49]
	v_fma_f64 v[12:13], v[12:13], 2.0, -v[16:17]
	s_delay_alu instid0(VALU_DEP_4)
	v_add_f64_e64 v[52:53], v[10:11], -v[0:1]
	v_add_f64_e32 v[0:1], v[48:49], v[96:97]
	v_fma_f64 v[54:55], v[62:63], s[6:7], v[16:17]
	v_fma_f64 v[6:7], v[6:7], 2.0, -v[46:47]
	v_add_f64_e64 v[62:63], v[8:9], -v[94:95]
	v_fma_f64 v[64:65], v[84:85], s[12:13], v[12:13]
	v_fma_f64 v[70:71], v[70:71], s[2:3], v[46:47]
	v_fma_f64 v[10:11], v[10:11], 2.0, -v[52:53]
	v_add_f64_e32 v[84:85], v[92:93], v[0:1]
	v_fma_f64 v[0:1], v[50:51], s[2:3], v[54:55]
	v_add_f64_e32 v[50:51], v[52:53], v[82:83]
	v_fma_f64 v[80:81], v[88:89], s[10:11], v[6:7]
	;; [unrolled: 2-line block ×3, first 2 shown]
	v_fma_f64 v[56:57], v[56:57], s[6:7], v[70:71]
	v_add_f64_e64 v[60:61], v[10:11], -v[60:61]
	v_fma_f64 v[48:49], v[48:49], 2.0, -v[84:85]
	v_fma_f64 v[64:65], v[16:17], 2.0, -v[0:1]
	;; [unrolled: 1-line block ×3, first 2 shown]
	v_add_nc_u32_e32 v16, 0x400, v107
	v_add_nc_u32_e32 v17, 0x800, v107
	v_fma_f64 v[62:63], v[72:73], s[2:3], v[80:81]
	v_fma_f64 v[8:9], v[8:9], 2.0, -v[54:55]
	v_fma_f64 v[12:13], v[12:13], 2.0, -v[58:59]
	;; [unrolled: 1-line block ×5, first 2 shown]
	ds_store_2addr_b64 v109, v[84:85], v[0:1] offset0:42 offset1:45
	ds_store_2addr_b64 v109, v[48:49], v[64:65] offset0:18 offset1:21
	;; [unrolled: 1-line block ×7, first 2 shown]
	ds_store_2addr_b64 v109, v[10:11], v[6:7] offset1:3
	global_wb scope:SCOPE_SE
	s_wait_dscnt 0x0
	s_barrier_signal -1
	s_barrier_wait -1
	global_inv scope:SCOPE_SE
	ds_load_b64 v[72:73], v108
	ds_load_2addr_b64 v[58:61], v107 offset0:144 offset1:171
	ds_load_2addr_b64 v[46:49], v16 offset0:124 offset1:160
	;; [unrolled: 1-line block ×7, first 2 shown]
	s_and_saveexec_b32 s1, vcc_lo
	s_cbranch_execz .LBB0_21
; %bb.20:
	ds_load_2addr_b64 v[0:3], v16 offset0:7 offset1:151
	ds_load_b64 v[68:69], v107 offset:3384
.LBB0_21:
	s_wait_alu 0xfffe
	s_or_b32 exec_lo, exec_lo, s1
	v_dual_mov_b32 v17, 0 :: v_dual_add_nc_u32 v104, 27, v74
	v_subrev_nc_u32_e32 v16, 21, v74
	v_cmp_gt_u32_e64 s1, 21, v74
	v_add_nc_u32_e32 v109, 0x51, v74
	v_and_b32_e32 v82, 0xff, v106
	v_add_nc_u32_e32 v105, 0x6c, v74
	v_mov_b32_e32 v71, v17
	s_wait_alu 0xf1ff
	v_cndmask_b32_e64 v160, v16, v104, s1
	v_lshlrev_b32_e32 v16, 1, v74
	v_and_b32_e32 v83, 0xff, v109
	v_mul_lo_u16 v84, 0xab, v82
	v_and_b32_e32 v86, 0xff, v105
	v_lshlrev_b32_e32 v70, 1, v160
	v_lshlrev_b64_e32 v[80:81], 4, v[16:17]
	v_mul_lo_u16 v85, 0xab, v83
	v_lshrrev_b16 v84, 13, v84
	v_add_nc_u32_e32 v16, 12, v16
	v_lshlrev_b64_e32 v[82:83], 4, v[70:71]
	s_mov_b32 s2, 0xe8584caa
	v_add_co_u32 v70, s1, s4, v80
	v_lshrrev_b16 v161, 13, v85
	v_mul_lo_u16 v85, 0xab, v86
	s_wait_alu 0xf1ff
	v_add_co_ci_u32_e64 v71, s1, s5, v81, s1
	v_add_co_u32 v80, s1, s4, v82
	s_wait_alu 0xf1ff
	v_add_co_ci_u32_e64 v81, s1, s5, v83, s1
	v_mul_lo_u16 v83, v84, 48
	v_lshrrev_b16 v84, 13, v85
	v_lshlrev_b64_e32 v[16:17], 4, v[16:17]
	v_mul_lo_u16 v82, v161, 48
	s_clause 0x1
	global_load_b128 v[98:101], v[70:71], off offset:720
	global_load_b128 v[110:113], v[80:81], off offset:720
	v_sub_nc_u16 v83, v106, v83
	v_mul_lo_u16 v84, v84, 48
	v_sub_nc_u16 v82, v109, v82
	v_add_co_u32 v16, s1, s4, v16
	s_wait_alu 0xf1ff
	v_add_co_ci_u32_e64 v17, s1, s5, v17, s1
	v_and_b32_e32 v162, 0xff, v83
	v_sub_nc_u16 v83, v105, v84
	v_and_b32_e32 v163, 0xff, v82
	s_clause 0x1
	global_load_b128 v[114:117], v[16:17], off offset:736
	global_load_b128 v[118:121], v[80:81], off offset:736
	s_mov_b32 s3, 0x3febb67a
	v_lshlrev_b32_e32 v80, 5, v162
	v_and_b32_e32 v164, 0xff, v83
	v_lshlrev_b32_e32 v81, 5, v163
	s_clause 0x2
	global_load_b128 v[122:125], v[70:71], off offset:736
	global_load_b128 v[126:129], v[16:17], off offset:720
	global_load_b128 v[130:133], v80, s[4:5] offset:736
	s_mov_b32 s7, 0xbfebb67a
	s_wait_alu 0xfffe
	s_mov_b32 s6, s2
	v_lshlrev_b32_e32 v16, 5, v164
	s_clause 0x4
	global_load_b128 v[134:137], v80, s[4:5] offset:720
	global_load_b128 v[138:141], v81, s[4:5] offset:720
	;; [unrolled: 1-line block ×5, first 2 shown]
	v_cmp_lt_u32_e64 s1, 20, v74
	global_wb scope:SCOPE_SE
	s_wait_loadcnt_dscnt 0x0
	s_barrier_signal -1
	s_barrier_wait -1
	global_inv scope:SCOPE_SE
	v_mul_f64_e32 v[16:17], v[58:59], v[100:101]
	v_mul_f64_e32 v[80:81], v[60:61], v[112:113]
	;; [unrolled: 1-line block ×18, first 2 shown]
	v_fma_f64 v[84:85], v[42:43], v[98:99], -v[16:17]
	v_fma_f64 v[42:43], v[44:45], v[110:111], -v[80:81]
	v_mul_f64_e32 v[16:17], v[78:79], v[132:133]
	v_mul_f64_e32 v[132:133], v[66:67], v[136:137]
	v_fma_f64 v[98:99], v[58:59], v[98:99], v[100:101]
	v_fma_f64 v[100:101], v[60:61], v[110:111], v[112:113]
	v_fma_f64 v[80:81], v[40:41], v[114:115], -v[82:83]
	v_fma_f64 v[82:83], v[38:39], v[118:119], -v[86:87]
	v_mul_f64_e32 v[38:39], v[36:37], v[140:141]
	v_mul_f64_e32 v[40:41], v[26:27], v[148:149]
	v_fma_f64 v[96:97], v[28:29], v[122:123], -v[88:89]
	v_fma_f64 v[86:87], v[34:35], v[126:127], -v[90:91]
	;; [unrolled: 1-line block ×3, first 2 shown]
	v_mul_f64_e32 v[28:29], v[30:31], v[144:145]
	v_fma_f64 v[78:79], v[66:67], v[134:135], -v[94:95]
	v_fma_f64 v[88:89], v[36:37], v[138:139], -v[102:103]
	;; [unrolled: 1-line block ×3, first 2 shown]
	v_mul_f64_e32 v[34:35], v[32:33], v[152:153]
	v_fma_f64 v[90:91], v[26:27], v[146:147], -v[156:157]
	v_fma_f64 v[94:95], v[32:33], v[150:151], -v[158:159]
	v_fma_f64 v[58:59], v[48:49], v[122:123], v[124:125]
	v_fma_f64 v[48:49], v[64:65], v[114:115], v[116:117]
	;; [unrolled: 1-line block ×6, first 2 shown]
	v_add_f64_e32 v[26:27], v[42:43], v[82:83]
	v_fma_f64 v[56:57], v[56:57], v[138:139], v[38:39]
	v_fma_f64 v[102:103], v[46:47], v[146:147], v[40:41]
	v_add_f64_e32 v[2:3], v[84:85], v[96:97]
	v_add_f64_e32 v[16:17], v[86:87], v[80:81]
	;; [unrolled: 1-line block ×3, first 2 shown]
	v_fma_f64 v[50:51], v[50:51], v[142:143], v[28:29]
	v_add_f64_e32 v[28:29], v[78:79], v[44:45]
	v_add_f64_e32 v[66:67], v[14:15], v[78:79]
	v_add_f64_e32 v[30:31], v[88:89], v[92:93]
	v_fma_f64 v[46:47], v[52:53], v[150:151], v[34:35]
	v_add_f64_e32 v[34:35], v[4:5], v[84:85]
	v_add_f64_e32 v[32:33], v[90:91], v[94:95]
	v_add_f64_e64 v[36:37], v[98:99], -v[58:59]
	v_add_f64_e32 v[52:53], v[22:23], v[42:43]
	v_add_f64_e64 v[40:41], v[64:65], -v[48:49]
	v_add_f64_e64 v[112:113], v[100:101], -v[60:61]
	v_add_f64_e32 v[68:69], v[18:19], v[88:89]
	v_add_f64_e32 v[110:111], v[20:21], v[90:91]
	v_fma_f64 v[22:23], v[26:27], -0.5, v[22:23]
	v_fma_f64 v[4:5], v[2:3], -0.5, v[4:5]
	;; [unrolled: 1-line block ×3, first 2 shown]
	v_add_f64_e64 v[24:25], v[62:63], -v[54:55]
	v_add_f64_e64 v[26:27], v[56:57], -v[50:51]
	v_fma_f64 v[14:15], v[28:29], -0.5, v[14:15]
	v_add_f64_e32 v[2:3], v[66:67], v[44:45]
	v_fma_f64 v[18:19], v[30:31], -0.5, v[18:19]
	v_add_f64_e64 v[28:29], v[102:103], -v[46:47]
	v_add_f64_e32 v[30:31], v[34:35], v[96:97]
	v_fma_f64 v[20:21], v[32:33], -0.5, v[20:21]
	v_add_f64_e32 v[32:33], v[38:39], v[80:81]
	v_add_f64_e32 v[34:35], v[52:53], v[82:83]
	v_lshlrev_b32_e32 v52, 3, v162
	v_add_f64_e32 v[38:39], v[68:69], v[92:93]
	v_add_f64_e32 v[68:69], v[110:111], v[94:95]
	v_fma_f64 v[118:119], v[112:113], s[2:3], v[22:23]
	s_wait_alu 0xfffe
	v_fma_f64 v[22:23], v[112:113], s[6:7], v[22:23]
	v_fma_f64 v[114:115], v[36:37], s[2:3], v[4:5]
	;; [unrolled: 1-line block ×9, first 2 shown]
	s_wait_alu 0xf1ff
	v_cndmask_b32_e64 v14, 0, 0x480, s1
	v_fma_f64 v[26:27], v[28:29], s[2:3], v[20:21]
	v_fma_f64 v[20:21], v[28:29], s[6:7], v[20:21]
	v_lshlrev_b32_e32 v15, 3, v160
	v_and_b32_e32 v24, 0xffff, v161
	v_add_nc_u32_e32 v14, 0, v14
	s_delay_alu instid0(VALU_DEP_1) | instskip(SKIP_1) | instid1(VALU_DEP_4)
	v_add3_u32 v53, v14, v15, v75
	v_lshlrev_b32_e32 v14, 3, v164
	v_mad_u32_u24 v15, 0x480, v24, 0
	v_lshlrev_b32_e32 v24, 3, v163
	s_delay_alu instid0(VALU_DEP_3) | instskip(NEXT) | instid1(VALU_DEP_2)
	v_add3_u32 v110, 0, v14, v75
	v_add3_u32 v111, v15, v24, v75
	s_delay_alu instid0(VALU_DEP_2)
	v_add_nc_u32_e32 v14, 0x800, v110
	ds_store_2addr_b64 v107, v[30:31], v[114:115] offset1:48
	ds_store_b64 v107, v[36:37] offset:768
	ds_store_2addr_b64 v53, v[34:35], v[118:119] offset1:48
	ds_store_b64 v53, v[22:23] offset:768
	ds_store_2addr_b64 v107, v[32:33], v[116:117] offset0:150 offset1:198
	ds_store_b64 v107, v[16:17] offset:1968
	ds_store_2addr_b64 v111, v[38:39], v[40:41] offset1:48
	ds_store_b64 v111, v[18:19] offset:768
	ds_store_2addr_b64 v14, v[68:69], v[26:27] offset0:32 offset1:80
	ds_store_b64 v110, v[20:21] offset:3072
	s_and_saveexec_b32 s1, vcc_lo
	s_cbranch_execz .LBB0_23
; %bb.22:
	v_add3_u32 v14, 0, v52, v75
	s_delay_alu instid0(VALU_DEP_1)
	v_add_nc_u32_e32 v15, 0x800, v14
	ds_store_2addr_b64 v15, v[2:3], v[4:5] offset0:32 offset1:80
	ds_store_b64 v14, v[66:67] offset:3072
.LBB0_23:
	s_wait_alu 0xfffe
	s_or_b32 exec_lo, exec_lo, s1
	v_add_nc_u32_e32 v114, 0x400, v107
	v_add_nc_u32_e32 v34, 0x800, v107
	global_wb scope:SCOPE_SE
	s_wait_dscnt 0x0
	s_barrier_signal -1
	s_barrier_wait -1
	global_inv scope:SCOPE_SE
	ds_load_b64 v[68:69], v108
	ds_load_2addr_b64 v[26:29], v107 offset0:144 offset1:171
	ds_load_2addr_b64 v[22:25], v114 offset0:124 offset1:160
	;; [unrolled: 1-line block ×7, first 2 shown]
	v_add_nc_u32_e32 v112, 48, v107
	v_add_nc_u32_e32 v113, 0x600, v107
	s_and_saveexec_b32 s1, vcc_lo
	s_cbranch_execz .LBB0_25
; %bb.24:
	ds_load_2addr_b64 v[2:5], v114 offset0:7 offset1:151
	ds_load_b64 v[66:67], v107 offset:3384
.LBB0_25:
	s_wait_alu 0xfffe
	s_or_b32 exec_lo, exec_lo, s1
	v_add_f64_e32 v[114:115], v[98:99], v[58:59]
	v_add_f64_e32 v[116:117], v[100:101], v[60:61]
	;; [unrolled: 1-line block ×7, first 2 shown]
	v_add_f64_e64 v[84:85], v[84:85], -v[96:97]
	v_add_f64_e32 v[96:97], v[10:11], v[100:101]
	v_add_f64_e32 v[64:65], v[12:13], v[64:65]
	;; [unrolled: 1-line block ×4, first 2 shown]
	v_add_f64_e64 v[42:43], v[42:43], -v[82:83]
	v_add_f64_e64 v[80:81], v[86:87], -v[80:81]
	;; [unrolled: 1-line block ×5, first 2 shown]
	v_add_f64_e32 v[56:57], v[6:7], v[56:57]
	s_mov_b32 s2, 0xe8584caa
	s_mov_b32 s3, 0xbfebb67a
	;; [unrolled: 1-line block ×3, first 2 shown]
	s_wait_alu 0xfffe
	s_mov_b32 s6, s2
	global_wb scope:SCOPE_SE
	s_wait_dscnt 0x0
	s_barrier_signal -1
	s_barrier_wait -1
	global_inv scope:SCOPE_SE
	v_fma_f64 v[72:73], v[114:115], -0.5, v[72:73]
	v_fma_f64 v[10:11], v[116:117], -0.5, v[10:11]
	;; [unrolled: 1-line block ×6, first 2 shown]
	v_add_f64_e32 v[58:59], v[98:99], v[58:59]
	v_add_f64_e32 v[60:61], v[96:97], v[60:61]
	;; [unrolled: 1-line block ×6, first 2 shown]
	v_fma_f64 v[54:55], v[84:85], s[2:3], v[72:73]
	v_fma_f64 v[62:63], v[42:43], s[2:3], v[10:11]
	s_wait_alu 0xfffe
	v_fma_f64 v[10:11], v[42:43], s[6:7], v[10:11]
	v_fma_f64 v[42:43], v[80:81], s[2:3], v[12:13]
	v_fma_f64 v[12:13], v[80:81], s[6:7], v[12:13]
	v_fma_f64 v[78:79], v[88:89], s[2:3], v[8:9]
	v_fma_f64 v[80:81], v[88:89], s[6:7], v[8:9]
	v_fma_f64 v[8:9], v[44:45], s[2:3], v[0:1]
	v_fma_f64 v[0:1], v[44:45], s[6:7], v[0:1]
	v_fma_f64 v[56:57], v[84:85], s[6:7], v[72:73]
	v_fma_f64 v[64:65], v[82:83], s[2:3], v[86:87]
	v_fma_f64 v[72:73], v[82:83], s[6:7], v[86:87]
	v_add_nc_u32_e32 v44, 0x800, v110
	ds_store_2addr_b64 v107, v[58:59], v[54:55] offset1:48
	ds_store_b64 v107, v[56:57] offset:768
	ds_store_2addr_b64 v53, v[60:61], v[62:63] offset1:48
	ds_store_b64 v53, v[10:11] offset:768
	ds_store_b64 v113, v[42:43] offset:48
	ds_store_2addr_b64 v112, v[48:49], v[12:13] offset0:144 offset1:240
	ds_store_2addr_b64 v111, v[50:51], v[64:65] offset1:48
	ds_store_b64 v111, v[72:73] offset:768
	ds_store_2addr_b64 v44, v[46:47], v[78:79] offset0:32 offset1:80
	ds_store_b64 v110, v[80:81] offset:3072
	s_and_saveexec_b32 s1, vcc_lo
	s_cbranch_execz .LBB0_27
; %bb.26:
	v_add3_u32 v10, 0, v52, v75
	s_delay_alu instid0(VALU_DEP_1)
	v_add_nc_u32_e32 v11, 0x800, v10
	ds_store_2addr_b64 v11, v[6:7], v[8:9] offset0:32 offset1:80
	ds_store_b64 v10, v[0:1] offset:3072
.LBB0_27:
	s_wait_alu 0xfffe
	s_or_b32 exec_lo, exec_lo, s1
	v_add_nc_u32_e32 v72, 0x400, v107
	v_add_nc_u32_e32 v62, 0x800, v107
	global_wb scope:SCOPE_SE
	s_wait_dscnt 0x0
	s_barrier_signal -1
	s_barrier_wait -1
	global_inv scope:SCOPE_SE
	ds_load_b64 v[78:79], v108
	ds_load_2addr_b64 v[46:49], v107 offset0:144 offset1:171
	ds_load_2addr_b64 v[58:61], v72 offset0:124 offset1:160
	;; [unrolled: 1-line block ×7, first 2 shown]
	s_and_saveexec_b32 s1, vcc_lo
	s_cbranch_execz .LBB0_29
; %bb.28:
	ds_load_2addr_b64 v[6:9], v72 offset0:7 offset1:151
	ds_load_b64 v[0:1], v107 offset:3384
.LBB0_29:
	s_wait_alu 0xfffe
	s_or_b32 exec_lo, exec_lo, s1
	s_and_saveexec_b32 s1, s0
	s_cbranch_execz .LBB0_32
; %bb.30:
	v_dual_mov_b32 v73, 0 :: v_dual_lshlrev_b32 v72, 1, v105
	s_mov_b32 s2, 0xe8584caa
	s_mov_b32 s3, 0x3febb67a
	;; [unrolled: 1-line block ×3, first 2 shown]
	s_wait_alu 0xfffe
	s_mov_b32 s6, s2
	v_lshlrev_b64_e32 v[80:81], 4, v[72:73]
	v_dual_mov_b32 v75, v73 :: v_dual_lshlrev_b32 v72, 1, v109
	s_delay_alu instid0(VALU_DEP_1) | instskip(SKIP_1) | instid1(VALU_DEP_4)
	v_lshlrev_b64_e32 v[82:83], 4, v[72:73]
	v_lshl_add_u32 v72, v74, 1, 0x6c
	v_add_co_u32 v92, s0, s4, v80
	s_wait_alu 0xf1ff
	v_add_co_ci_u32_e64 v93, s0, s5, v81, s0
	s_delay_alu instid0(VALU_DEP_3)
	v_lshlrev_b64_e32 v[107:108], 4, v[72:73]
	v_lshlrev_b32_e32 v72, 1, v104
	v_add_co_u32 v100, s0, s4, v82
	s_wait_alu 0xf1ff
	v_add_co_ci_u32_e64 v101, s0, s5, v83, s0
	s_clause 0x3
	global_load_b128 v[80:83], v[70:71], off offset:2256
	global_load_b128 v[84:87], v[70:71], off offset:2272
	;; [unrolled: 1-line block ×4, first 2 shown]
	v_lshlrev_b64_e32 v[70:71], 4, v[72:73]
	v_add_co_u32 v111, s0, s4, v107
	s_wait_alu 0xf1ff
	v_add_co_ci_u32_e64 v112, s0, s5, v108, s0
	s_clause 0x1
	global_load_b128 v[96:99], v[100:101], off offset:2272
	global_load_b128 v[100:103], v[100:101], off offset:2256
	v_add_co_u32 v70, s0, s4, v70
	s_wait_alu 0xf1ff
	v_add_co_ci_u32_e64 v71, s0, s5, v71, s0
	s_clause 0x3
	global_load_b128 v[107:110], v[111:112], off offset:2256
	global_load_b128 v[111:114], v[111:112], off offset:2272
	;; [unrolled: 1-line block ×4, first 2 shown]
	v_mul_hi_u32 v72, 0x38e38e39, v105
	s_wait_loadcnt_dscnt 0x906
	v_mul_f64_e32 v[70:71], v[46:47], v[82:83]
	v_mul_f64_e32 v[82:83], v[26:27], v[82:83]
	s_wait_loadcnt_dscnt 0x805
	v_mul_f64_e32 v[123:124], v[60:61], v[86:87]
	v_mul_f64_e32 v[86:87], v[24:25], v[86:87]
	s_wait_loadcnt 0x6
	v_mul_f64_e32 v[125:126], v[22:23], v[94:95]
	v_mul_f64_e32 v[127:128], v[36:37], v[90:91]
	;; [unrolled: 1-line block ×3, first 2 shown]
	s_wait_dscnt 0x0
	v_mul_f64_e32 v[90:91], v[64:65], v[90:91]
	s_wait_loadcnt 0x5
	v_mul_f64_e32 v[131:132], v[62:63], v[98:99]
	s_wait_loadcnt 0x4
	v_mul_f64_e32 v[129:130], v[56:57], v[102:103]
	v_mul_f64_e32 v[102:103], v[40:41], v[102:103]
	;; [unrolled: 1-line block ×3, first 2 shown]
	s_wait_loadcnt 0x3
	v_mul_f64_e32 v[133:134], v[54:55], v[109:110]
	v_mul_f64_e32 v[109:110], v[38:39], v[109:110]
	s_wait_loadcnt 0x2
	v_mul_f64_e32 v[135:136], v[32:33], v[113:114]
	v_mul_f64_e32 v[113:114], v[52:53], v[113:114]
	;; [unrolled: 3-line block ×4, first 2 shown]
	v_fma_f64 v[26:27], v[26:27], v[80:81], -v[70:71]
	v_fma_f64 v[46:47], v[46:47], v[80:81], v[82:83]
	v_fma_f64 v[24:25], v[24:25], v[84:85], -v[123:124]
	v_fma_f64 v[60:61], v[60:61], v[84:85], v[86:87]
	v_fma_f64 v[58:59], v[58:59], v[92:93], v[125:126]
	;; [unrolled: 1-line block ×3, first 2 shown]
	v_fma_f64 v[22:23], v[22:23], v[92:93], -v[94:95]
	v_fma_f64 v[34:35], v[34:35], v[96:97], -v[131:132]
	;; [unrolled: 1-line block ×3, first 2 shown]
	v_fma_f64 v[56:57], v[56:57], v[100:101], v[102:103]
	v_fma_f64 v[62:63], v[62:63], v[96:97], v[98:99]
	v_fma_f64 v[38:39], v[38:39], v[107:108], -v[133:134]
	v_fma_f64 v[54:55], v[54:55], v[107:108], v[109:110]
	v_fma_f64 v[52:53], v[52:53], v[111:112], v[135:136]
	v_fma_f64 v[32:33], v[32:33], v[111:112], -v[113:114]
	v_fma_f64 v[28:29], v[28:29], v[115:116], -v[137:138]
	v_fma_f64 v[48:49], v[48:49], v[115:116], v[117:118]
	v_fma_f64 v[50:51], v[50:51], v[119:120], v[139:140]
	v_fma_f64 v[70:71], v[30:31], v[119:120], -v[121:122]
	v_fma_f64 v[30:31], v[36:37], v[88:89], -v[90:91]
	v_add_f64_e32 v[100:101], v[78:79], v[46:47]
	v_add_f64_e32 v[80:81], v[26:27], v[24:25]
	;; [unrolled: 1-line block ×3, first 2 shown]
	v_add_f64_e64 v[98:99], v[26:27], -v[24:25]
	v_add_f64_e32 v[82:83], v[58:59], v[64:65]
	v_add_f64_e32 v[26:27], v[68:69], v[26:27]
	v_add_f64_e32 v[107:108], v[44:45], v[58:59]
	v_add_f64_e64 v[46:47], v[46:47], -v[60:61]
	v_add_f64_e32 v[86:87], v[40:41], v[34:35]
	v_add_f64_e64 v[109:110], v[40:41], -v[34:35]
	v_add_f64_e32 v[84:85], v[56:57], v[62:63]
	v_add_f64_e32 v[115:116], v[16:17], v[38:39]
	;; [unrolled: 1-line block ×10, first 2 shown]
	v_add_f64_e64 v[102:103], v[22:23], -v[30:31]
	v_add_f64_e32 v[22:23], v[20:21], v[22:23]
	v_add_f64_e32 v[117:118], v[10:11], v[48:49]
	;; [unrolled: 1-line block ×3, first 2 shown]
	v_add_f64_e64 v[121:122], v[48:49], -v[50:51]
	v_fma_f64 v[36:37], v[36:37], -0.5, v[78:79]
	v_add_f64_e64 v[78:79], v[56:57], -v[62:63]
	v_fma_f64 v[56:57], v[80:81], -0.5, v[68:69]
	;; [unrolled: 2-line block ×4, first 2 shown]
	v_fma_f64 v[84:85], v[86:87], -0.5, v[18:19]
	v_add_f64_e32 v[18:19], v[107:108], v[64:65]
	v_fma_f64 v[86:87], v[88:89], -0.5, v[12:13]
	v_fma_f64 v[88:89], v[90:91], -0.5, v[16:17]
	v_add_f64_e64 v[90:91], v[28:29], -v[70:71]
	v_add_f64_e32 v[12:13], v[26:27], v[24:25]
	v_fma_f64 v[10:11], v[92:93], -0.5, v[10:11]
	v_fma_f64 v[92:93], v[94:95], -0.5, v[14:15]
	v_add_f64_e64 v[94:95], v[58:59], -v[64:65]
	v_fma_f64 v[96:97], v[96:97], -0.5, v[20:21]
	v_add_f64_e32 v[26:27], v[113:114], v[52:53]
	v_add_f64_e32 v[24:25], v[115:116], v[32:33]
	;; [unrolled: 1-line block ×8, first 2 shown]
	v_lshrrev_b32_e32 v64, 5, v72
	s_delay_alu instid0(VALU_DEP_1) | instskip(NEXT) | instid1(VALU_DEP_1)
	v_mul_u32_u24_e32 v72, 0x120, v64
	v_lshlrev_b64_e32 v[64:65], 4, v[72:73]
	v_fma_f64 v[34:35], v[98:99], s[2:3], v[36:37]
	s_wait_alu 0xfffe
	v_fma_f64 v[38:39], v[98:99], s[6:7], v[36:37]
	v_fma_f64 v[32:33], v[46:47], s[6:7], v[56:57]
	;; [unrolled: 1-line block ×19, first 2 shown]
	v_lshlrev_b64_e32 v[10:11], 4, v[74:75]
	v_add_co_u32 v75, s0, s8, v76
	s_wait_alu 0xf1ff
	v_add_co_ci_u32_e64 v76, s0, s9, v77, s0
	s_delay_alu instid0(VALU_DEP_2) | instskip(SKIP_1) | instid1(VALU_DEP_2)
	v_add_co_u32 v10, s0, v75, v10
	s_wait_alu 0xf1ff
	v_add_co_ci_u32_e64 v11, s0, v76, v11, s0
	s_delay_alu instid0(VALU_DEP_2) | instskip(SKIP_1) | instid1(VALU_DEP_2)
	v_add_co_u32 v64, s0, v10, v64
	s_wait_alu 0xf1ff
	v_add_co_ci_u32_e64 v65, s0, v11, v65, s0
	s_clause 0xe
	global_store_b128 v[10:11], v[24:27], off offset:864
	global_store_b128 v[10:11], v[20:23], off offset:1296
	global_store_b128 v[10:11], v[12:15], off
	global_store_b128 v[10:11], v[28:31], off offset:432
	global_store_b128 v[10:11], v[52:55], off offset:3168
	;; [unrolled: 1-line block ×12, first 2 shown]
	s_and_b32 exec_lo, exec_lo, vcc_lo
	s_cbranch_execz .LBB0_32
; %bb.31:
	v_add_nc_u32_e32 v12, -9, v74
	s_delay_alu instid0(VALU_DEP_1) | instskip(NEXT) | instid1(VALU_DEP_1)
	v_cndmask_b32_e32 v12, v12, v106, vcc_lo
	v_lshlrev_b32_e32 v72, 1, v12
	s_delay_alu instid0(VALU_DEP_1) | instskip(NEXT) | instid1(VALU_DEP_1)
	v_lshlrev_b64_e32 v[12:13], 4, v[72:73]
	v_add_co_u32 v16, vcc_lo, s4, v12
	s_wait_alu 0xfffd
	s_delay_alu instid0(VALU_DEP_2)
	v_add_co_ci_u32_e32 v17, vcc_lo, s5, v13, vcc_lo
	s_clause 0x1
	global_load_b128 v[12:15], v[16:17], off offset:2256
	global_load_b128 v[16:19], v[16:17], off offset:2272
	s_wait_loadcnt 0x1
	v_mul_f64_e32 v[20:21], v[8:9], v[14:15]
	s_wait_loadcnt 0x0
	v_mul_f64_e32 v[22:23], v[0:1], v[18:19]
	v_mul_f64_e32 v[14:15], v[4:5], v[14:15]
	;; [unrolled: 1-line block ×3, first 2 shown]
	s_delay_alu instid0(VALU_DEP_4) | instskip(NEXT) | instid1(VALU_DEP_4)
	v_fma_f64 v[4:5], v[4:5], v[12:13], -v[20:21]
	v_fma_f64 v[20:21], v[66:67], v[16:17], -v[22:23]
	s_delay_alu instid0(VALU_DEP_4) | instskip(NEXT) | instid1(VALU_DEP_4)
	v_fma_f64 v[8:9], v[8:9], v[12:13], v[14:15]
	v_fma_f64 v[12:13], v[0:1], v[16:17], v[18:19]
	s_delay_alu instid0(VALU_DEP_4) | instskip(NEXT) | instid1(VALU_DEP_4)
	v_add_f64_e32 v[16:17], v[2:3], v[4:5]
	v_add_f64_e32 v[0:1], v[4:5], v[20:21]
	v_add_f64_e64 v[24:25], v[4:5], -v[20:21]
	s_delay_alu instid0(VALU_DEP_4)
	v_add_f64_e32 v[14:15], v[8:9], v[12:13]
	v_add_f64_e64 v[18:19], v[8:9], -v[12:13]
	v_add_f64_e32 v[8:9], v[6:7], v[8:9]
	v_fma_f64 v[22:23], v[0:1], -0.5, v[2:3]
	v_add_f64_e32 v[0:1], v[16:17], v[20:21]
	v_fma_f64 v[14:15], v[14:15], -0.5, v[6:7]
	s_delay_alu instid0(VALU_DEP_4) | instskip(NEXT) | instid1(VALU_DEP_4)
	v_add_f64_e32 v[2:3], v[8:9], v[12:13]
	v_fma_f64 v[4:5], v[18:19], s[2:3], v[22:23]
	v_fma_f64 v[12:13], v[18:19], s[6:7], v[22:23]
	s_delay_alu instid0(VALU_DEP_4)
	v_fma_f64 v[6:7], v[24:25], s[6:7], v[14:15]
	v_fma_f64 v[14:15], v[24:25], s[2:3], v[14:15]
	s_clause 0x2
	global_store_b128 v[10:11], v[0:3], off offset:2160
	global_store_b128 v[10:11], v[4:7], off offset:4464
	;; [unrolled: 1-line block ×3, first 2 shown]
.LBB0_32:
	s_nop 0
	s_sendmsg sendmsg(MSG_DEALLOC_VGPRS)
	s_endpgm
	.section	.rodata,"a",@progbits
	.p2align	6, 0x0
	.amdhsa_kernel fft_rtc_fwd_len432_factors_3_16_3_3_wgs_54_tpt_27_halfLds_dp_ip_CI_unitstride_sbrr_dirReg
		.amdhsa_group_segment_fixed_size 0
		.amdhsa_private_segment_fixed_size 0
		.amdhsa_kernarg_size 88
		.amdhsa_user_sgpr_count 2
		.amdhsa_user_sgpr_dispatch_ptr 0
		.amdhsa_user_sgpr_queue_ptr 0
		.amdhsa_user_sgpr_kernarg_segment_ptr 1
		.amdhsa_user_sgpr_dispatch_id 0
		.amdhsa_user_sgpr_private_segment_size 0
		.amdhsa_wavefront_size32 1
		.amdhsa_uses_dynamic_stack 0
		.amdhsa_enable_private_segment 0
		.amdhsa_system_sgpr_workgroup_id_x 1
		.amdhsa_system_sgpr_workgroup_id_y 0
		.amdhsa_system_sgpr_workgroup_id_z 0
		.amdhsa_system_sgpr_workgroup_info 0
		.amdhsa_system_vgpr_workitem_id 0
		.amdhsa_next_free_vgpr 165
		.amdhsa_next_free_sgpr 32
		.amdhsa_reserve_vcc 1
		.amdhsa_float_round_mode_32 0
		.amdhsa_float_round_mode_16_64 0
		.amdhsa_float_denorm_mode_32 3
		.amdhsa_float_denorm_mode_16_64 3
		.amdhsa_fp16_overflow 0
		.amdhsa_workgroup_processor_mode 1
		.amdhsa_memory_ordered 1
		.amdhsa_forward_progress 0
		.amdhsa_round_robin_scheduling 0
		.amdhsa_exception_fp_ieee_invalid_op 0
		.amdhsa_exception_fp_denorm_src 0
		.amdhsa_exception_fp_ieee_div_zero 0
		.amdhsa_exception_fp_ieee_overflow 0
		.amdhsa_exception_fp_ieee_underflow 0
		.amdhsa_exception_fp_ieee_inexact 0
		.amdhsa_exception_int_div_zero 0
	.end_amdhsa_kernel
	.text
.Lfunc_end0:
	.size	fft_rtc_fwd_len432_factors_3_16_3_3_wgs_54_tpt_27_halfLds_dp_ip_CI_unitstride_sbrr_dirReg, .Lfunc_end0-fft_rtc_fwd_len432_factors_3_16_3_3_wgs_54_tpt_27_halfLds_dp_ip_CI_unitstride_sbrr_dirReg
                                        ; -- End function
	.section	.AMDGPU.csdata,"",@progbits
; Kernel info:
; codeLenInByte = 8988
; NumSgprs: 34
; NumVgprs: 165
; ScratchSize: 0
; MemoryBound: 1
; FloatMode: 240
; IeeeMode: 1
; LDSByteSize: 0 bytes/workgroup (compile time only)
; SGPRBlocks: 4
; VGPRBlocks: 20
; NumSGPRsForWavesPerEU: 34
; NumVGPRsForWavesPerEU: 165
; Occupancy: 9
; WaveLimiterHint : 1
; COMPUTE_PGM_RSRC2:SCRATCH_EN: 0
; COMPUTE_PGM_RSRC2:USER_SGPR: 2
; COMPUTE_PGM_RSRC2:TRAP_HANDLER: 0
; COMPUTE_PGM_RSRC2:TGID_X_EN: 1
; COMPUTE_PGM_RSRC2:TGID_Y_EN: 0
; COMPUTE_PGM_RSRC2:TGID_Z_EN: 0
; COMPUTE_PGM_RSRC2:TIDIG_COMP_CNT: 0
	.text
	.p2alignl 7, 3214868480
	.fill 96, 4, 3214868480
	.type	__hip_cuid_760c54ce374df844,@object ; @__hip_cuid_760c54ce374df844
	.section	.bss,"aw",@nobits
	.globl	__hip_cuid_760c54ce374df844
__hip_cuid_760c54ce374df844:
	.byte	0                               ; 0x0
	.size	__hip_cuid_760c54ce374df844, 1

	.ident	"AMD clang version 19.0.0git (https://github.com/RadeonOpenCompute/llvm-project roc-6.4.0 25133 c7fe45cf4b819c5991fe208aaa96edf142730f1d)"
	.section	".note.GNU-stack","",@progbits
	.addrsig
	.addrsig_sym __hip_cuid_760c54ce374df844
	.amdgpu_metadata
---
amdhsa.kernels:
  - .args:
      - .actual_access:  read_only
        .address_space:  global
        .offset:         0
        .size:           8
        .value_kind:     global_buffer
      - .offset:         8
        .size:           8
        .value_kind:     by_value
      - .actual_access:  read_only
        .address_space:  global
        .offset:         16
        .size:           8
        .value_kind:     global_buffer
      - .actual_access:  read_only
        .address_space:  global
        .offset:         24
        .size:           8
        .value_kind:     global_buffer
      - .offset:         32
        .size:           8
        .value_kind:     by_value
      - .actual_access:  read_only
        .address_space:  global
        .offset:         40
        .size:           8
        .value_kind:     global_buffer
      - .actual_access:  read_only
        .address_space:  global
        .offset:         48
        .size:           8
        .value_kind:     global_buffer
      - .offset:         56
        .size:           4
        .value_kind:     by_value
      - .actual_access:  read_only
        .address_space:  global
        .offset:         64
        .size:           8
        .value_kind:     global_buffer
      - .actual_access:  read_only
        .address_space:  global
        .offset:         72
        .size:           8
        .value_kind:     global_buffer
      - .address_space:  global
        .offset:         80
        .size:           8
        .value_kind:     global_buffer
    .group_segment_fixed_size: 0
    .kernarg_segment_align: 8
    .kernarg_segment_size: 88
    .language:       OpenCL C
    .language_version:
      - 2
      - 0
    .max_flat_workgroup_size: 54
    .name:           fft_rtc_fwd_len432_factors_3_16_3_3_wgs_54_tpt_27_halfLds_dp_ip_CI_unitstride_sbrr_dirReg
    .private_segment_fixed_size: 0
    .sgpr_count:     34
    .sgpr_spill_count: 0
    .symbol:         fft_rtc_fwd_len432_factors_3_16_3_3_wgs_54_tpt_27_halfLds_dp_ip_CI_unitstride_sbrr_dirReg.kd
    .uniform_work_group_size: 1
    .uses_dynamic_stack: false
    .vgpr_count:     165
    .vgpr_spill_count: 0
    .wavefront_size: 32
    .workgroup_processor_mode: 1
amdhsa.target:   amdgcn-amd-amdhsa--gfx1201
amdhsa.version:
  - 1
  - 2
...

	.end_amdgpu_metadata
